;; amdgpu-corpus repo=ROCm/rocFFT kind=compiled arch=gfx906 opt=O3
	.text
	.amdgcn_target "amdgcn-amd-amdhsa--gfx906"
	.amdhsa_code_object_version 6
	.protected	fft_rtc_back_len484_factors_4_11_11_wgs_44_tpt_44_half_op_CI_CI_unitstride_sbrr_R2C_dirReg ; -- Begin function fft_rtc_back_len484_factors_4_11_11_wgs_44_tpt_44_half_op_CI_CI_unitstride_sbrr_R2C_dirReg
	.globl	fft_rtc_back_len484_factors_4_11_11_wgs_44_tpt_44_half_op_CI_CI_unitstride_sbrr_R2C_dirReg
	.p2align	8
	.type	fft_rtc_back_len484_factors_4_11_11_wgs_44_tpt_44_half_op_CI_CI_unitstride_sbrr_R2C_dirReg,@function
fft_rtc_back_len484_factors_4_11_11_wgs_44_tpt_44_half_op_CI_CI_unitstride_sbrr_R2C_dirReg: ; @fft_rtc_back_len484_factors_4_11_11_wgs_44_tpt_44_half_op_CI_CI_unitstride_sbrr_R2C_dirReg
; %bb.0:
	s_load_dwordx4 s[8:11], s[4:5], 0x58
	s_load_dwordx4 s[12:15], s[4:5], 0x0
	;; [unrolled: 1-line block ×3, first 2 shown]
	v_mul_u32_u24_e32 v1, 0x5d2, v0
	v_mov_b32_e32 v5, 0
	v_mov_b32_e32 v10, 0
	s_waitcnt lgkmcnt(0)
	v_cmp_lt_u64_e64 s[0:1], s[14:15], 2
	v_add_u32_sdwa v7, s6, v1 dst_sel:DWORD dst_unused:UNUSED_PAD src0_sel:DWORD src1_sel:WORD_1
	v_mov_b32_e32 v8, v5
	s_and_b64 vcc, exec, s[0:1]
	v_mov_b32_e32 v11, 0
	s_cbranch_vccnz .LBB0_8
; %bb.1:
	s_load_dwordx2 s[0:1], s[4:5], 0x10
	s_add_u32 s2, s18, 8
	s_addc_u32 s3, s19, 0
	s_add_u32 s6, s16, 8
	s_addc_u32 s7, s17, 0
	v_mov_b32_e32 v10, 0
	s_waitcnt lgkmcnt(0)
	s_add_u32 s20, s0, 8
	v_mov_b32_e32 v11, 0
	v_mov_b32_e32 v1, v10
	s_addc_u32 s21, s1, 0
	s_mov_b64 s[22:23], 1
	v_mov_b32_e32 v2, v11
.LBB0_2:                                ; =>This Inner Loop Header: Depth=1
	s_load_dwordx2 s[24:25], s[20:21], 0x0
                                        ; implicit-def: $vgpr3_vgpr4
	s_waitcnt lgkmcnt(0)
	v_or_b32_e32 v6, s25, v8
	v_cmp_ne_u64_e32 vcc, 0, v[5:6]
	s_and_saveexec_b64 s[0:1], vcc
	s_xor_b64 s[26:27], exec, s[0:1]
	s_cbranch_execz .LBB0_4
; %bb.3:                                ;   in Loop: Header=BB0_2 Depth=1
	v_cvt_f32_u32_e32 v3, s24
	v_cvt_f32_u32_e32 v4, s25
	s_sub_u32 s0, 0, s24
	s_subb_u32 s1, 0, s25
	v_mac_f32_e32 v3, 0x4f800000, v4
	v_rcp_f32_e32 v3, v3
	v_mul_f32_e32 v3, 0x5f7ffffc, v3
	v_mul_f32_e32 v4, 0x2f800000, v3
	v_trunc_f32_e32 v4, v4
	v_mac_f32_e32 v3, 0xcf800000, v4
	v_cvt_u32_f32_e32 v4, v4
	v_cvt_u32_f32_e32 v3, v3
	v_mul_lo_u32 v6, s0, v4
	v_mul_hi_u32 v9, s0, v3
	v_mul_lo_u32 v13, s1, v3
	v_mul_lo_u32 v12, s0, v3
	v_add_u32_e32 v6, v9, v6
	v_add_u32_e32 v6, v6, v13
	v_mul_hi_u32 v9, v3, v12
	v_mul_lo_u32 v13, v3, v6
	v_mul_hi_u32 v15, v3, v6
	v_mul_hi_u32 v14, v4, v12
	v_mul_lo_u32 v12, v4, v12
	v_mul_hi_u32 v16, v4, v6
	v_add_co_u32_e32 v9, vcc, v9, v13
	v_addc_co_u32_e32 v13, vcc, 0, v15, vcc
	v_mul_lo_u32 v6, v4, v6
	v_add_co_u32_e32 v9, vcc, v9, v12
	v_addc_co_u32_e32 v9, vcc, v13, v14, vcc
	v_addc_co_u32_e32 v12, vcc, 0, v16, vcc
	v_add_co_u32_e32 v6, vcc, v9, v6
	v_addc_co_u32_e32 v9, vcc, 0, v12, vcc
	v_add_co_u32_e32 v3, vcc, v3, v6
	v_addc_co_u32_e32 v4, vcc, v4, v9, vcc
	v_mul_lo_u32 v6, s0, v4
	v_mul_hi_u32 v9, s0, v3
	v_mul_lo_u32 v12, s1, v3
	v_mul_lo_u32 v13, s0, v3
	v_add_u32_e32 v6, v9, v6
	v_add_u32_e32 v6, v6, v12
	v_mul_lo_u32 v14, v3, v6
	v_mul_hi_u32 v15, v3, v13
	v_mul_hi_u32 v16, v3, v6
	v_mul_hi_u32 v12, v4, v13
	v_mul_lo_u32 v13, v4, v13
	v_mul_hi_u32 v9, v4, v6
	v_add_co_u32_e32 v14, vcc, v15, v14
	v_addc_co_u32_e32 v15, vcc, 0, v16, vcc
	v_mul_lo_u32 v6, v4, v6
	v_add_co_u32_e32 v13, vcc, v14, v13
	v_addc_co_u32_e32 v12, vcc, v15, v12, vcc
	v_addc_co_u32_e32 v9, vcc, 0, v9, vcc
	v_add_co_u32_e32 v6, vcc, v12, v6
	v_addc_co_u32_e32 v9, vcc, 0, v9, vcc
	v_add_co_u32_e32 v6, vcc, v3, v6
	v_addc_co_u32_e32 v9, vcc, v4, v9, vcc
	v_mad_u64_u32 v[3:4], s[0:1], v7, v9, 0
	v_mul_hi_u32 v12, v7, v6
	v_add_co_u32_e32 v14, vcc, v12, v3
	v_addc_co_u32_e32 v15, vcc, 0, v4, vcc
	v_mad_u64_u32 v[3:4], s[0:1], v8, v6, 0
	v_mad_u64_u32 v[12:13], s[0:1], v8, v9, 0
	v_add_co_u32_e32 v3, vcc, v14, v3
	v_addc_co_u32_e32 v3, vcc, v15, v4, vcc
	v_addc_co_u32_e32 v4, vcc, 0, v13, vcc
	v_add_co_u32_e32 v6, vcc, v3, v12
	v_addc_co_u32_e32 v9, vcc, 0, v4, vcc
	v_mul_lo_u32 v12, s25, v6
	v_mul_lo_u32 v13, s24, v9
	v_mad_u64_u32 v[3:4], s[0:1], s24, v6, 0
	v_add3_u32 v4, v4, v13, v12
	v_sub_u32_e32 v12, v8, v4
	v_mov_b32_e32 v13, s25
	v_sub_co_u32_e32 v3, vcc, v7, v3
	v_subb_co_u32_e64 v12, s[0:1], v12, v13, vcc
	v_subrev_co_u32_e64 v13, s[0:1], s24, v3
	v_subbrev_co_u32_e64 v12, s[0:1], 0, v12, s[0:1]
	v_cmp_le_u32_e64 s[0:1], s25, v12
	v_cndmask_b32_e64 v14, 0, -1, s[0:1]
	v_cmp_le_u32_e64 s[0:1], s24, v13
	v_cndmask_b32_e64 v13, 0, -1, s[0:1]
	v_cmp_eq_u32_e64 s[0:1], s25, v12
	v_cndmask_b32_e64 v12, v14, v13, s[0:1]
	v_add_co_u32_e64 v13, s[0:1], 2, v6
	v_addc_co_u32_e64 v14, s[0:1], 0, v9, s[0:1]
	v_add_co_u32_e64 v15, s[0:1], 1, v6
	v_addc_co_u32_e64 v16, s[0:1], 0, v9, s[0:1]
	v_subb_co_u32_e32 v4, vcc, v8, v4, vcc
	v_cmp_ne_u32_e64 s[0:1], 0, v12
	v_cmp_le_u32_e32 vcc, s25, v4
	v_cndmask_b32_e64 v12, v16, v14, s[0:1]
	v_cndmask_b32_e64 v14, 0, -1, vcc
	v_cmp_le_u32_e32 vcc, s24, v3
	v_cndmask_b32_e64 v3, 0, -1, vcc
	v_cmp_eq_u32_e32 vcc, s25, v4
	v_cndmask_b32_e32 v3, v14, v3, vcc
	v_cmp_ne_u32_e32 vcc, 0, v3
	v_cndmask_b32_e64 v3, v15, v13, s[0:1]
	v_cndmask_b32_e32 v4, v9, v12, vcc
	v_cndmask_b32_e32 v3, v6, v3, vcc
.LBB0_4:                                ;   in Loop: Header=BB0_2 Depth=1
	s_andn2_saveexec_b64 s[0:1], s[26:27]
	s_cbranch_execz .LBB0_6
; %bb.5:                                ;   in Loop: Header=BB0_2 Depth=1
	v_cvt_f32_u32_e32 v3, s24
	s_sub_i32 s26, 0, s24
	v_rcp_iflag_f32_e32 v3, v3
	v_mul_f32_e32 v3, 0x4f7ffffe, v3
	v_cvt_u32_f32_e32 v3, v3
	v_mul_lo_u32 v4, s26, v3
	v_mul_hi_u32 v4, v3, v4
	v_add_u32_e32 v3, v3, v4
	v_mul_hi_u32 v3, v7, v3
	v_mul_lo_u32 v4, v3, s24
	v_add_u32_e32 v6, 1, v3
	v_sub_u32_e32 v4, v7, v4
	v_subrev_u32_e32 v9, s24, v4
	v_cmp_le_u32_e32 vcc, s24, v4
	v_cndmask_b32_e32 v4, v4, v9, vcc
	v_cndmask_b32_e32 v3, v3, v6, vcc
	v_add_u32_e32 v6, 1, v3
	v_cmp_le_u32_e32 vcc, s24, v4
	v_cndmask_b32_e32 v3, v3, v6, vcc
	v_mov_b32_e32 v4, v5
.LBB0_6:                                ;   in Loop: Header=BB0_2 Depth=1
	s_or_b64 exec, exec, s[0:1]
	v_mul_lo_u32 v6, v4, s24
	v_mul_lo_u32 v9, v3, s25
	v_mad_u64_u32 v[12:13], s[0:1], v3, s24, 0
	s_load_dwordx2 s[0:1], s[6:7], 0x0
	s_load_dwordx2 s[24:25], s[2:3], 0x0
	v_add3_u32 v6, v13, v9, v6
	v_sub_co_u32_e32 v7, vcc, v7, v12
	v_subb_co_u32_e32 v6, vcc, v8, v6, vcc
	s_waitcnt lgkmcnt(0)
	v_mul_lo_u32 v8, s0, v6
	v_mul_lo_u32 v9, s1, v7
	v_mad_u64_u32 v[10:11], s[0:1], s0, v7, v[10:11]
	v_mul_lo_u32 v6, s24, v6
	v_mul_lo_u32 v12, s25, v7
	v_mad_u64_u32 v[1:2], s[0:1], s24, v7, v[1:2]
	s_add_u32 s22, s22, 1
	s_addc_u32 s23, s23, 0
	s_add_u32 s2, s2, 8
	v_add3_u32 v2, v12, v2, v6
	s_addc_u32 s3, s3, 0
	v_mov_b32_e32 v6, s14
	s_add_u32 s6, s6, 8
	v_mov_b32_e32 v7, s15
	s_addc_u32 s7, s7, 0
	v_cmp_ge_u64_e32 vcc, s[22:23], v[6:7]
	s_add_u32 s20, s20, 8
	v_add3_u32 v11, v9, v11, v8
	s_addc_u32 s21, s21, 0
	s_cbranch_vccnz .LBB0_9
; %bb.7:                                ;   in Loop: Header=BB0_2 Depth=1
	v_mov_b32_e32 v8, v4
	v_mov_b32_e32 v7, v3
	s_branch .LBB0_2
.LBB0_8:
	v_mov_b32_e32 v1, v10
	v_mov_b32_e32 v3, v7
	;; [unrolled: 1-line block ×4, first 2 shown]
.LBB0_9:
	s_load_dwordx2 s[0:1], s[4:5], 0x28
	s_lshl_b64 s[6:7], s[14:15], 3
	s_add_u32 s2, s18, s6
	s_addc_u32 s3, s19, s7
                                        ; implicit-def: $vgpr5
                                        ; implicit-def: $vgpr7
                                        ; implicit-def: $vgpr9
	s_waitcnt lgkmcnt(0)
	v_cmp_gt_u64_e32 vcc, s[0:1], v[3:4]
	v_cmp_le_u64_e64 s[0:1], s[0:1], v[3:4]
	s_and_saveexec_b64 s[4:5], s[0:1]
	s_xor_b64 s[0:1], exec, s[4:5]
; %bb.10:
	s_mov_b32 s4, 0x5d1745e
	v_mul_hi_u32 v5, v0, s4
                                        ; implicit-def: $vgpr10_vgpr11
	v_mul_u32_u24_e32 v5, 44, v5
	v_sub_u32_e32 v5, v0, v5
	v_add_u32_e32 v7, 44, v5
	v_add_u32_e32 v9, 0x58, v5
                                        ; implicit-def: $vgpr0
; %bb.11:
	s_andn2_saveexec_b64 s[4:5], s[0:1]
	s_cbranch_execz .LBB0_13
; %bb.12:
	s_add_u32 s0, s16, s6
	s_addc_u32 s1, s17, s7
	s_load_dwordx2 s[0:1], s[0:1], 0x0
	s_mov_b32 s6, 0x5d1745e
	v_mul_hi_u32 v5, v0, s6
	s_waitcnt lgkmcnt(0)
	v_mul_lo_u32 v8, s1, v3
	v_mul_lo_u32 v9, s0, v4
	v_mad_u64_u32 v[6:7], s[0:1], s0, v3, 0
	v_mul_u32_u24_e32 v5, 44, v5
	v_sub_u32_e32 v5, v0, v5
	v_add3_u32 v7, v7, v9, v8
	v_lshlrev_b64 v[6:7], 2, v[6:7]
	v_mov_b32_e32 v0, s9
	v_add_co_u32_e64 v8, s[0:1], s8, v6
	v_addc_co_u32_e64 v0, s[0:1], v0, v7, s[0:1]
	v_lshlrev_b64 v[6:7], 2, v[10:11]
	v_add_u32_e32 v9, 0x58, v5
	v_add_co_u32_e64 v6, s[0:1], v8, v6
	v_addc_co_u32_e64 v0, s[0:1], v0, v7, s[0:1]
	v_lshlrev_b32_e32 v8, 2, v5
	v_add_co_u32_e64 v6, s[0:1], v6, v8
	v_addc_co_u32_e64 v7, s[0:1], 0, v0, s[0:1]
	global_load_dword v0, v[6:7], off
	global_load_dword v10, v[6:7], off offset:176
	global_load_dword v11, v[6:7], off offset:352
	;; [unrolled: 1-line block ×10, first 2 shown]
	v_add_u32_e32 v7, 44, v5
	v_add_u32_e32 v6, 0, v8
	;; [unrolled: 1-line block ×3, first 2 shown]
	s_waitcnt vmcnt(9)
	ds_write2_b32 v6, v0, v10 offset1:44
	s_waitcnt vmcnt(7)
	ds_write2_b32 v6, v11, v12 offset0:88 offset1:132
	s_waitcnt vmcnt(5)
	ds_write2_b32 v6, v13, v14 offset0:176 offset1:220
	;; [unrolled: 2-line block ×4, first 2 shown]
	s_waitcnt vmcnt(0)
	ds_write_b32 v6, v19 offset:1760
.LBB0_13:
	s_or_b64 exec, exec, s[4:5]
	v_lshl_add_u32 v0, v5, 2, 0
	v_add_u32_e32 v6, 0x200, v0
	s_load_dwordx2 s[2:3], s[2:3], 0x0
	s_waitcnt lgkmcnt(0)
	; wave barrier
	s_waitcnt lgkmcnt(0)
	ds_read2_b32 v[16:17], v0 offset1:44
	ds_read2_b32 v[18:19], v6 offset0:114 offset1:158
	ds_read2_b32 v[10:11], v0 offset0:88 offset1:121
	v_add_u32_e32 v6, 0x400, v0
	ds_read2_b32 v[14:15], v6 offset0:74 offset1:107
	ds_read2_b32 v[12:13], v0 offset0:165 offset1:209
	s_mov_b32 s0, 0xffff
	s_waitcnt lgkmcnt(3)
	v_pk_add_f16 v8, v17, v19 neg_lo:[0,1] neg_hi:[0,1]
	v_pk_add_f16 v18, v16, v18 neg_lo:[0,1] neg_hi:[0,1]
	s_waitcnt lgkmcnt(1)
	v_pk_add_f16 v19, v11, v15 neg_lo:[0,1] neg_hi:[0,1]
	v_pk_add_f16 v15, v18, v19 op_sel:[0,1] op_sel_hi:[1,0]
	v_pk_add_f16 v20, v18, v19 op_sel:[0,1] op_sel_hi:[1,0] neg_lo:[0,1] neg_hi:[0,1]
	v_bfi_b32 v20, s0, v15, v20
	v_pk_fma_f16 v21, v16, 2.0, v18 op_sel_hi:[1,0,1] neg_lo:[0,0,1] neg_hi:[0,0,1]
	ds_read2_b32 v[15:16], v6 offset0:151 offset1:195
	v_pk_fma_f16 v11, v11, 2.0, v19 op_sel_hi:[1,0,1] neg_lo:[0,0,1] neg_hi:[0,0,1]
	v_pk_fma_f16 v18, v18, 2.0, v20 op_sel_hi:[1,0,1] neg_lo:[0,0,1] neg_hi:[0,0,1]
	v_pk_add_f16 v11, v21, v11 neg_lo:[0,1] neg_hi:[0,1]
	v_mad_u32_u24 v19, v5, 12, v0
	s_waitcnt lgkmcnt(0)
	; wave barrier
	s_waitcnt lgkmcnt(0)
	ds_write2_b32 v19, v18, v11 offset0:1 offset1:2
	v_lshrrev_b32_e32 v18, 16, v21
	v_fma_f16 v21, v21, 2.0, -v11
	v_lshrrev_b32_e32 v11, 16, v11
	v_fma_f16 v11, v18, 2.0, -v11
	v_lshlrev_b32_e32 v11, 16, v11
	v_or_b32_sdwa v11, v11, v21 dst_sel:DWORD dst_unused:UNUSED_PAD src0_sel:DWORD src1_sel:WORD_0
	v_pk_add_f16 v18, v12, v15 neg_lo:[0,1] neg_hi:[0,1]
	ds_write2_b32 v19, v11, v20 offset1:3
	v_alignbit_b32 v11, s0, v18, 16
	v_alignbit_b32 v19, s0, v8, 16
	v_pk_fma_f16 v17, v17, 2.0, v8 op_sel_hi:[1,0,1] neg_lo:[0,0,1] neg_hi:[0,0,1]
	v_pk_add_f16 v11, v8, v11
	v_lshrrev_b32_e32 v15, 16, v8
	v_pk_add_f16 v19, v19, v18 neg_lo:[0,1] neg_hi:[0,1]
	v_pk_fma_f16 v12, v12, 2.0, v18 op_sel_hi:[1,0,1] neg_lo:[0,0,1] neg_hi:[0,0,1]
	v_fma_f16 v8, v8, 2.0, -v11
	v_fma_f16 v15, v15, 2.0, -v19
	v_pk_add_f16 v12, v17, v12 neg_lo:[0,1] neg_hi:[0,1]
	v_pack_b32_f16 v8, v8, v15
	v_lshl_add_u32 v15, v7, 4, 0
	v_pk_fma_f16 v17, v17, 2.0, v12 op_sel_hi:[1,0,1] neg_lo:[0,0,1] neg_hi:[0,0,1]
	ds_write2_b32 v15, v17, v8 offset1:1
	v_pack_b32_f16 v8, v11, v19
	v_cmp_gt_u32_e64 s[0:1], 33, v5
	ds_write2_b32 v15, v12, v8 offset0:2 offset1:3
	s_and_saveexec_b64 s[4:5], s[0:1]
	s_cbranch_execz .LBB0_15
; %bb.14:
	v_pk_add_f16 v11, v13, v16 neg_lo:[0,1] neg_hi:[0,1]
	v_pk_add_f16 v8, v10, v14 neg_lo:[0,1] neg_hi:[0,1]
	v_alignbit_b32 v12, s0, v11, 16
	v_pk_add_f16 v12, v8, v12
	v_alignbit_b32 v17, s0, v8, 16
	v_fma_f16 v14, v8, 2.0, -v12
	v_lshrrev_b32_e32 v16, 16, v8
	v_pk_add_f16 v17, v17, v11 neg_lo:[0,1] neg_hi:[0,1]
	v_pk_fma_f16 v8, v10, 2.0, v8 op_sel_hi:[1,0,1] neg_lo:[0,0,1] neg_hi:[0,0,1]
	v_pk_fma_f16 v10, v13, 2.0, v11 op_sel_hi:[1,0,1] neg_lo:[0,0,1] neg_hi:[0,0,1]
	v_fma_f16 v16, v16, 2.0, -v17
	v_pk_add_f16 v10, v8, v10 neg_lo:[0,1] neg_hi:[0,1]
	v_lshl_add_u32 v18, v9, 4, 0
	v_pk_fma_f16 v8, v8, 2.0, v10 op_sel_hi:[1,0,1] neg_lo:[0,0,1] neg_hi:[0,0,1]
	v_pack_b32_f16 v11, v14, v16
	ds_write2_b32 v18, v8, v11 offset1:1
	v_pack_b32_f16 v8, v12, v17
	ds_write2_b32 v18, v10, v8 offset0:2 offset1:3
.LBB0_15:
	s_or_b64 exec, exec, s[4:5]
	v_and_b32_e32 v10, 3, v5
	v_mul_u32_u24_e32 v8, 10, v10
	v_lshlrev_b32_e32 v8, 2, v8
	s_waitcnt lgkmcnt(0)
	; wave barrier
	s_waitcnt lgkmcnt(0)
	global_load_dwordx4 v[16:19], v8, s[12:13]
	global_load_dwordx4 v[20:23], v8, s[12:13] offset:16
	global_load_dwordx2 v[11:12], v8, s[12:13] offset:32
	v_mad_i32_i24 v8, v7, -12, v15
	ds_read2_b32 v[24:25], v0 offset1:132
	ds_read2_b32 v[26:27], v6 offset0:8 offset1:52
	v_lshl_add_u32 v13, v9, 2, 0
	ds_read2_b32 v[28:29], v0 offset0:176 offset1:220
	ds_read2_b32 v[30:31], v6 offset0:96 offset1:140
	ds_read_b32 v14, v8
	ds_read_b32 v32, v13
	ds_read_b32 v33, v0 offset:1760
	s_waitcnt lgkmcnt(6)
	v_lshrrev_b32_e32 v36, 16, v25
	s_waitcnt lgkmcnt(5)
	v_lshrrev_b32_e32 v34, 16, v26
	;; [unrolled: 2-line block ×3, first 2 shown]
	v_lshrrev_b32_e32 v37, 16, v28
	v_lshrrev_b32_e32 v39, 16, v30
	s_waitcnt lgkmcnt(0)
	v_lshrrev_b32_e32 v43, 16, v33
	v_lshrrev_b32_e32 v38, 16, v29
	;; [unrolled: 1-line block ×5, first 2 shown]
	s_movk_i32 s0, 0x3abb
	s_movk_i32 s1, 0x36a6
	s_mov_b32 s4, 0xb08e
	s_mov_b32 s5, 0xb93d
	;; [unrolled: 1-line block ×4, first 2 shown]
	s_movk_i32 s15, 0x3853
	s_mov_b32 s14, 0xbb47
	s_movk_i32 s9, 0x3b47
	s_mov_b32 s7, 0xbbeb
	s_movk_i32 s8, 0x3beb
	s_mov_b32 s17, 0xba0c
	s_movk_i32 s18, 0x3a0c
	s_mov_b32 s19, 0xb482
	s_movk_i32 s20, 0x3482
	s_waitcnt lgkmcnt(0)
	; wave barrier
	s_waitcnt vmcnt(2)
	v_mul_f16_sdwa v44, v16, v41 dst_sel:DWORD dst_unused:UNUSED_PAD src0_sel:WORD_1 src1_sel:DWORD
	v_mul_f16_sdwa v45, v16, v14 dst_sel:DWORD dst_unused:UNUSED_PAD src0_sel:WORD_1 src1_sel:DWORD
	;; [unrolled: 1-line block ×4, first 2 shown]
	s_waitcnt vmcnt(1)
	v_mul_f16_sdwa v58, v30, v23 dst_sel:DWORD dst_unused:UNUSED_PAD src0_sel:DWORD src1_sel:WORD_1
	v_mul_f16_sdwa v59, v39, v23 dst_sel:DWORD dst_unused:UNUSED_PAD src0_sel:DWORD src1_sel:WORD_1
	v_fma_f16 v14, v16, v14, v44
	v_fma_f16 v16, v16, v41, -v45
	s_waitcnt vmcnt(0)
	v_mul_f16_sdwa v41, v43, v12 dst_sel:DWORD dst_unused:UNUSED_PAD src0_sel:DWORD src1_sel:WORD_1
	v_mul_f16_sdwa v45, v33, v12 dst_sel:DWORD dst_unused:UNUSED_PAD src0_sel:DWORD src1_sel:WORD_1
	v_mul_f16_sdwa v48, v18, v36 dst_sel:DWORD dst_unused:UNUSED_PAD src0_sel:WORD_1 src1_sel:DWORD
	v_mul_f16_sdwa v49, v18, v25 dst_sel:DWORD dst_unused:UNUSED_PAD src0_sel:WORD_1 src1_sel:DWORD
	;; [unrolled: 1-line block ×3, first 2 shown]
	v_mul_f16_sdwa v60, v40, v11 dst_sel:DWORD dst_unused:UNUSED_PAD src0_sel:DWORD src1_sel:WORD_1
	v_fma_f16 v37, v19, v37, -v50
	v_fma_f16 v19, v19, v28, v51
	v_fma_f16 v28, v39, v23, -v58
	v_fma_f16 v23, v30, v23, v59
	v_fma_f16 v30, v33, v12, v41
	v_fma_f16 v12, v43, v12, -v45
	v_mul_f16_sdwa v53, v20, v29 dst_sel:DWORD dst_unused:UNUSED_PAD src0_sel:WORD_1 src1_sel:DWORD
	v_mul_f16_sdwa v54, v34, v21 dst_sel:DWORD dst_unused:UNUSED_PAD src0_sel:DWORD src1_sel:WORD_1
	v_mul_f16_sdwa v55, v26, v21 dst_sel:DWORD dst_unused:UNUSED_PAD src0_sel:DWORD src1_sel:WORD_1
	;; [unrolled: 1-line block ×5, first 2 shown]
	v_fma_f16 v36, v18, v36, -v49
	v_fma_f16 v18, v18, v25, v48
	v_fma_f16 v25, v20, v29, v52
	;; [unrolled: 1-line block ×3, first 2 shown]
	v_sub_f16_e32 v31, v16, v12
	v_mul_f16_sdwa v46, v17, v42 dst_sel:DWORD dst_unused:UNUSED_PAD src0_sel:WORD_1 src1_sel:DWORD
	v_mul_f16_sdwa v47, v17, v32 dst_sel:DWORD dst_unused:UNUSED_PAD src0_sel:WORD_1 src1_sel:DWORD
	v_fma_f16 v20, v20, v38, -v53
	v_fma_f16 v26, v26, v21, v54
	v_fma_f16 v27, v27, v22, v56
	v_fma_f16 v21, v34, v21, -v55
	v_fma_f16 v22, v35, v22, -v57
	v_add_f16_e32 v33, v14, v30
	v_mul_f16_e32 v34, 0xb853, v31
	v_mul_f16_e32 v35, 0xbb47, v31
	;; [unrolled: 1-line block ×5, first 2 shown]
	v_fma_f16 v32, v17, v32, v46
	v_fma_f16 v17, v17, v42, -v47
	v_fma_f16 v11, v40, v11, -v44
	v_fma_f16 v40, v33, s0, v34
	v_fma_f16 v34, v33, s0, -v34
	v_fma_f16 v41, v33, s1, v35
	;; [unrolled: 2-line block ×5, first 2 shown]
	v_fma_f16 v31, v33, s6, -v31
	v_add_f16_e32 v33, v16, v12
	v_sub_f16_e32 v45, v14, v30
	v_add_f16_e32 v14, v14, v24
	v_add_f16_sdwa v16, v16, v24 dst_sel:DWORD dst_unused:UNUSED_PAD src0_sel:DWORD src1_sel:WORD_1
	v_add_f16_e32 v14, v14, v32
	v_add_f16_e32 v16, v16, v17
	;; [unrolled: 1-line block ×17, first 2 shown]
	v_add_f16_sdwa v12, v16, v12 dst_sel:WORD_1 dst_unused:UNUSED_PAD src0_sel:DWORD src1_sel:DWORD
	v_or_b32_e32 v12, v12, v14
	v_add_f16_e32 v14, v32, v29
	v_sub_f16_e32 v16, v32, v29
	v_add_f16_e32 v29, v17, v11
	v_sub_f16_e32 v11, v17, v11
	v_mul_f16_e32 v17, 0xbb47, v11
	v_add_f16_e32 v34, v34, v24
	v_fma_f16 v30, v14, s1, v17
	v_fma_f16 v17, v14, s1, -v17
	v_mul_f16_e32 v46, 0x3abb, v33
	v_mul_f16_e32 v48, 0x36a6, v33
	;; [unrolled: 1-line block ×5, first 2 shown]
	v_add_f16_e32 v40, v40, v24
	v_add_f16_e32 v17, v17, v34
	v_mul_f16_e32 v34, 0xba0c, v11
	v_fma_f16 v47, v45, s15, v46
	v_fma_f16 v46, v45, s16, v46
	;; [unrolled: 1-line block ×10, first 2 shown]
	v_add_f16_e32 v41, v41, v24
	v_add_f16_e32 v30, v30, v40
	v_mul_f16_e32 v32, 0x36a6, v29
	v_fma_f16 v40, v14, s5, v34
	v_add_f16_sdwa v45, v47, v24 dst_sel:DWORD dst_unused:UNUSED_PAD src0_sel:DWORD src1_sel:WORD_1
	v_add_f16_sdwa v46, v46, v24 dst_sel:DWORD dst_unused:UNUSED_PAD src0_sel:DWORD src1_sel:WORD_1
	;; [unrolled: 1-line block ×3, first 2 shown]
	v_add_f16_e32 v35, v35, v24
	v_add_f16_sdwa v48, v48, v24 dst_sel:DWORD dst_unused:UNUSED_PAD src0_sel:DWORD src1_sel:WORD_1
	v_add_f16_e32 v42, v42, v24
	v_add_f16_sdwa v49, v51, v24 dst_sel:DWORD dst_unused:UNUSED_PAD src0_sel:DWORD src1_sel:WORD_1
	;; [unrolled: 2-line block ×7, first 2 shown]
	v_fma_f16 v33, v16, s9, v32
	v_add_f16_e32 v40, v40, v41
	v_mul_f16_e32 v41, 0xb93d, v29
	v_fma_f16 v34, v14, s5, -v34
	v_add_f16_e32 v33, v33, v45
	v_fma_f16 v32, v16, s14, v32
	v_fma_f16 v45, v16, s18, v41
	v_add_f16_e32 v34, v34, v35
	v_fma_f16 v35, v16, s17, v41
	v_mul_f16_e32 v41, 0x3482, v11
	v_add_f16_e32 v32, v32, v46
	v_fma_f16 v46, v14, s6, v41
	v_add_f16_e32 v42, v46, v42
	v_mul_f16_e32 v46, 0xbbad, v29
	v_fma_f16 v41, v14, s6, -v41
	v_add_f16_e32 v45, v45, v47
	v_fma_f16 v47, v16, s19, v46
	v_add_f16_e32 v38, v41, v38
	v_fma_f16 v41, v16, s20, v46
	v_mul_f16_e32 v46, 0x3beb, v11
	v_add_f16_e32 v35, v35, v48
	v_fma_f16 v48, v14, s4, v46
	v_add_f16_e32 v43, v48, v43
	v_mul_f16_e32 v48, 0xb08e, v29
	v_fma_f16 v46, v14, s4, -v46
	v_mul_f16_e32 v11, 0x3853, v11
	v_mul_f16_e32 v29, 0x3abb, v29
	v_add_f16_e32 v47, v47, v49
	v_fma_f16 v49, v16, s7, v48
	v_add_f16_e32 v39, v46, v39
	v_fma_f16 v46, v16, s8, v48
	v_fma_f16 v48, v14, s0, v11
	v_fma_f16 v11, v14, s0, -v11
	v_fma_f16 v14, v16, s15, v29
	v_add_f16_e32 v14, v14, v24
	v_sub_f16_e32 v24, v36, v28
	v_add_f16_e32 v44, v48, v44
	v_fma_f16 v48, v16, s16, v29
	v_add_f16_e32 v16, v18, v23
	v_sub_f16_e32 v18, v18, v23
	v_add_f16_e32 v23, v36, v28
	v_mul_f16_e32 v28, 0xbbeb, v24
	v_fma_f16 v29, v16, s4, v28
	v_add_f16_e32 v29, v29, v30
	v_mul_f16_e32 v30, 0xb08e, v23
	v_fma_f16 v28, v16, s4, -v28
	v_add_f16_e32 v11, v11, v31
	v_fma_f16 v31, v18, s8, v30
	v_add_f16_e32 v17, v28, v17
	v_fma_f16 v28, v18, s7, v30
	v_mul_f16_e32 v30, 0x3482, v24
	v_add_f16_e32 v31, v31, v33
	v_add_f16_e32 v28, v28, v32
	v_fma_f16 v32, v16, s6, v30
	v_mul_f16_e32 v33, 0xbbad, v23
	v_fma_f16 v30, v16, s6, -v30
	v_fma_f16 v36, v18, s19, v33
	v_add_f16_e32 v30, v30, v34
	v_fma_f16 v33, v18, s20, v33
	v_mul_f16_e32 v34, 0x3b47, v24
	v_add_f16_e32 v32, v32, v40
	v_add_f16_e32 v33, v33, v35
	v_fma_f16 v35, v16, s1, v34
	v_mul_f16_e32 v40, 0x36a6, v23
	v_fma_f16 v34, v16, s1, -v34
	v_add_f16_e32 v41, v41, v50
	v_add_f16_e32 v35, v35, v42
	v_fma_f16 v42, v18, s14, v40
	v_add_f16_e32 v34, v34, v38
	v_fma_f16 v38, v18, s9, v40
	v_mul_f16_e32 v40, 0xb853, v24
	v_add_f16_e32 v38, v38, v41
	v_fma_f16 v41, v16, s0, v40
	v_add_f16_e32 v41, v41, v43
	v_mul_f16_e32 v43, 0x3abb, v23
	v_fma_f16 v40, v16, s0, -v40
	v_mul_f16_e32 v24, 0xba0c, v24
	v_add_f16_e32 v36, v36, v45
	v_fma_f16 v45, v18, s15, v43
	v_add_f16_e32 v39, v40, v39
	v_fma_f16 v40, v18, s16, v43
	v_fma_f16 v43, v16, s5, v24
	v_mul_f16_e32 v23, 0xb93d, v23
	v_fma_f16 v16, v16, s5, -v24
	v_add_f16_e32 v11, v16, v11
	v_fma_f16 v16, v18, s17, v23
	v_add_f16_e32 v43, v43, v44
	v_fma_f16 v44, v18, s18, v23
	v_add_f16_e32 v14, v16, v14
	v_add_f16_e32 v16, v19, v27
	v_sub_f16_e32 v18, v19, v27
	v_add_f16_e32 v19, v37, v22
	v_sub_f16_e32 v22, v37, v22
	v_mul_f16_e32 v23, 0xba0c, v22
	v_fma_f16 v24, v16, s5, v23
	v_mul_f16_e32 v27, 0xb93d, v19
	v_fma_f16 v23, v16, s5, -v23
	v_add_f16_e32 v24, v24, v29
	v_fma_f16 v29, v18, s18, v27
	v_add_f16_e32 v17, v23, v17
	v_fma_f16 v23, v18, s17, v27
	v_mul_f16_e32 v27, 0x3beb, v22
	v_add_f16_e32 v29, v29, v31
	v_add_f16_e32 v23, v23, v28
	v_fma_f16 v28, v16, s4, v27
	v_mul_f16_e32 v31, 0xb08e, v19
	v_fma_f16 v27, v16, s4, -v27
	v_add_f16_e32 v28, v28, v32
	v_fma_f16 v32, v18, s7, v31
	v_add_f16_e32 v27, v27, v30
	v_fma_f16 v30, v18, s8, v31
	v_mul_f16_e32 v31, 0xb853, v22
	v_add_f16_e32 v30, v30, v33
	v_fma_f16 v33, v16, s0, v31
	v_add_f16_e32 v33, v33, v35
	v_mul_f16_e32 v35, 0x3abb, v19
	v_fma_f16 v31, v16, s0, -v31
	v_add_f16_e32 v32, v32, v36
	v_fma_f16 v36, v18, s15, v35
	v_add_f16_e32 v31, v31, v34
	v_fma_f16 v34, v18, s16, v35
	v_mul_f16_e32 v35, 0xb482, v22
	v_add_f16_e32 v46, v46, v52
	v_add_f16_e32 v34, v34, v38
	v_fma_f16 v37, v16, s6, v35
	v_mul_f16_e32 v38, 0xbbad, v19
	v_fma_f16 v35, v16, s6, -v35
	v_mul_f16_e32 v22, 0x3b47, v22
	v_add_f16_e32 v40, v40, v46
	v_add_f16_e32 v37, v37, v41
	v_fma_f16 v41, v18, s20, v38
	v_add_f16_e32 v35, v35, v39
	v_fma_f16 v38, v18, s19, v38
	v_fma_f16 v39, v16, s1, v22
	v_mul_f16_e32 v19, 0x36a6, v19
	v_fma_f16 v16, v16, s1, -v22
	v_add_f16_e32 v38, v38, v40
	v_fma_f16 v40, v18, s14, v19
	v_add_f16_e32 v11, v16, v11
	v_fma_f16 v16, v18, s9, v19
	v_add_f16_e32 v19, v20, v21
	v_sub_f16_e32 v20, v20, v21
	v_add_f16_e32 v14, v16, v14
	v_add_f16_e32 v16, v25, v26
	v_mul_f16_e32 v21, 0xb482, v20
	v_fma_f16 v22, v16, s6, v21
	v_sub_f16_e32 v18, v25, v26
	v_add_f16_e32 v22, v22, v24
	v_mul_f16_e32 v24, 0xbbad, v19
	v_fma_f16 v21, v16, s6, -v21
	v_add_f16_e32 v17, v21, v17
	v_fma_f16 v21, v18, s19, v24
	v_add_f16_e32 v21, v21, v23
	v_mul_f16_e32 v23, 0x3853, v20
	v_fma_f16 v25, v18, s20, v24
	v_fma_f16 v24, v16, s0, v23
	v_fma_f16 v23, v16, s0, -v23
	v_mul_f16_e32 v26, 0x3abb, v19
	v_add_f16_e32 v23, v23, v27
	v_mul_f16_e32 v27, 0xba0c, v20
	v_add_f16_e32 v25, v25, v29
	v_add_f16_e32 v24, v24, v28
	v_fma_f16 v28, v18, s16, v26
	v_fma_f16 v26, v18, s15, v26
	;; [unrolled: 1-line block ×3, first 2 shown]
	v_fma_f16 v27, v16, s5, -v27
	v_add_f16_e32 v26, v26, v30
	v_mul_f16_e32 v30, 0xb93d, v19
	v_add_f16_e32 v27, v27, v31
	v_mul_f16_e32 v31, 0x3b47, v20
	v_add_f16_e32 v28, v28, v32
	v_add_f16_e32 v29, v29, v33
	v_fma_f16 v32, v18, s18, v30
	v_fma_f16 v30, v18, s17, v30
	;; [unrolled: 1-line block ×3, first 2 shown]
	v_fma_f16 v31, v16, s1, -v31
	v_mul_f16_e32 v20, 0xbbeb, v20
	v_add_f16_e32 v30, v30, v34
	v_mul_f16_e32 v34, 0x36a6, v19
	v_add_f16_e32 v31, v31, v35
	v_fma_f16 v35, v16, s4, v20
	v_mul_f16_e32 v19, 0xb08e, v19
	v_fma_f16 v16, v16, s4, -v20
	v_add_f16_e32 v11, v16, v11
	v_fma_f16 v16, v18, s7, v19
	v_add_f16_e32 v14, v16, v14
	v_lshrrev_b32_e32 v16, 2, v5
	v_add_f16_e32 v49, v49, v51
	v_add_f16_e32 v48, v48, v53
	;; [unrolled: 1-line block ×3, first 2 shown]
	v_mul_u32_u24_e32 v16, 44, v16
	v_add_f16_e32 v45, v45, v49
	v_add_f16_e32 v44, v44, v48
	;; [unrolled: 1-line block ×3, first 2 shown]
	v_or_b32_e32 v10, v16, v10
	v_add_f16_e32 v41, v41, v45
	v_add_f16_e32 v39, v39, v43
	;; [unrolled: 1-line block ×5, first 2 shown]
	v_fma_f16 v36, v18, s14, v34
	v_fma_f16 v37, v18, s8, v19
	v_lshl_add_u32 v10, v10, 2, 0
	v_pack_b32_f16 v16, v22, v25
	v_add_f16_e32 v36, v36, v41
	v_fma_f16 v34, v18, s9, v34
	v_add_f16_e32 v35, v35, v39
	v_add_f16_e32 v37, v37, v40
	ds_write2_b32 v10, v12, v16 offset1:4
	v_pack_b32_f16 v12, v24, v28
	v_pack_b32_f16 v16, v29, v32
	v_add_f16_e32 v34, v34, v38
	ds_write2_b32 v10, v12, v16 offset0:8 offset1:12
	v_pack_b32_f16 v12, v33, v36
	v_pack_b32_f16 v16, v35, v37
	ds_write2_b32 v10, v12, v16 offset0:16 offset1:20
	v_pack_b32_f16 v11, v11, v14
	v_pack_b32_f16 v12, v31, v34
	;; [unrolled: 3-line block ×3, first 2 shown]
	ds_write2_b32 v10, v11, v12 offset0:32 offset1:36
	v_pack_b32_f16 v11, v17, v21
	ds_write_b32 v10, v11 offset:160
	v_mul_u32_u24_e32 v10, 10, v5
	v_lshlrev_b32_e32 v10, 2, v10
	s_waitcnt lgkmcnt(0)
	; wave barrier
	s_waitcnt lgkmcnt(0)
	global_load_dwordx4 v[16:19], v10, s[12:13] offset:160
	global_load_dwordx4 v[20:23], v10, s[12:13] offset:176
	global_load_dwordx2 v[24:25], v10, s[12:13] offset:192
	ds_read2_b32 v[26:27], v6 offset0:8 offset1:52
	ds_read2_b32 v[28:29], v0 offset1:132
	ds_read_b32 v8, v8
	ds_read2_b32 v[10:11], v0 offset0:176 offset1:220
	ds_read2_b32 v[30:31], v6 offset0:96 offset1:140
	ds_read_b32 v14, v13
	s_waitcnt lgkmcnt(5)
	v_lshrrev_b32_e32 v12, 16, v26
	v_lshrrev_b32_e32 v35, 16, v27
	s_waitcnt lgkmcnt(3)
	v_lshrrev_b32_e32 v32, 16, v8
	s_waitcnt lgkmcnt(1)
	v_lshrrev_b32_e32 v36, 16, v30
	s_waitcnt vmcnt(2)
	v_mul_f16_sdwa v33, v16, v32 dst_sel:DWORD dst_unused:UNUSED_PAD src0_sel:WORD_1 src1_sel:DWORD
	v_fma_f16 v33, v16, v8, v33
	v_mul_f16_sdwa v8, v16, v8 dst_sel:DWORD dst_unused:UNUSED_PAD src0_sel:WORD_1 src1_sel:DWORD
	v_fma_f16 v16, v16, v32, -v8
	s_waitcnt lgkmcnt(0)
	v_lshrrev_b32_e32 v8, 16, v14
	v_mul_f16_sdwa v34, v17, v8 dst_sel:DWORD dst_unused:UNUSED_PAD src0_sel:WORD_1 src1_sel:DWORD
	v_fma_f16 v34, v17, v14, v34
	v_mul_f16_sdwa v14, v17, v14 dst_sel:DWORD dst_unused:UNUSED_PAD src0_sel:WORD_1 src1_sel:DWORD
	v_fma_f16 v14, v17, v8, -v14
	v_lshrrev_b32_e32 v8, 16, v29
	v_mul_f16_sdwa v17, v18, v8 dst_sel:DWORD dst_unused:UNUSED_PAD src0_sel:WORD_1 src1_sel:DWORD
	v_fma_f16 v17, v18, v29, v17
	v_mul_f16_sdwa v29, v18, v29 dst_sel:DWORD dst_unused:UNUSED_PAD src0_sel:WORD_1 src1_sel:DWORD
	v_fma_f16 v18, v18, v8, -v29
	v_lshrrev_b32_e32 v8, 16, v10
	v_mul_f16_sdwa v29, v19, v10 dst_sel:DWORD dst_unused:UNUSED_PAD src0_sel:WORD_1 src1_sel:DWORD
	v_fma_f16 v29, v19, v8, -v29
	v_mul_f16_sdwa v8, v19, v8 dst_sel:DWORD dst_unused:UNUSED_PAD src0_sel:WORD_1 src1_sel:DWORD
	v_fma_f16 v19, v19, v10, v8
	v_lshrrev_b32_e32 v10, 16, v11
	s_waitcnt vmcnt(1)
	v_mul_f16_sdwa v8, v20, v10 dst_sel:DWORD dst_unused:UNUSED_PAD src0_sel:WORD_1 src1_sel:DWORD
	v_fma_f16 v8, v20, v11, v8
	v_mul_f16_sdwa v11, v20, v11 dst_sel:DWORD dst_unused:UNUSED_PAD src0_sel:WORD_1 src1_sel:DWORD
	ds_read_b32 v32, v0 offset:1760
	v_fma_f16 v10, v20, v10, -v11
	v_mul_f16_sdwa v11, v12, v21 dst_sel:DWORD dst_unused:UNUSED_PAD src0_sel:DWORD src1_sel:WORD_1
	v_mul_f16_sdwa v20, v26, v21 dst_sel:DWORD dst_unused:UNUSED_PAD src0_sel:DWORD src1_sel:WORD_1
	v_fma_f16 v11, v26, v21, v11
	v_fma_f16 v12, v12, v21, -v20
	v_mul_f16_sdwa v20, v35, v22 dst_sel:DWORD dst_unused:UNUSED_PAD src0_sel:DWORD src1_sel:WORD_1
	v_mul_f16_sdwa v21, v27, v22 dst_sel:DWORD dst_unused:UNUSED_PAD src0_sel:DWORD src1_sel:WORD_1
	v_fma_f16 v20, v27, v22, v20
	v_fma_f16 v21, v35, v22, -v21
	v_mul_f16_sdwa v22, v30, v23 dst_sel:DWORD dst_unused:UNUSED_PAD src0_sel:DWORD src1_sel:WORD_1
	v_mul_f16_sdwa v26, v36, v23 dst_sel:DWORD dst_unused:UNUSED_PAD src0_sel:DWORD src1_sel:WORD_1
	v_fma_f16 v22, v36, v23, -v22
	v_fma_f16 v23, v30, v23, v26
	v_lshrrev_b32_e32 v26, 16, v31
	s_waitcnt vmcnt(0)
	v_mul_f16_sdwa v30, v26, v24 dst_sel:DWORD dst_unused:UNUSED_PAD src0_sel:DWORD src1_sel:WORD_1
	s_waitcnt lgkmcnt(0)
	v_lshrrev_b32_e32 v27, 16, v32
	v_fma_f16 v30, v31, v24, v30
	v_mul_f16_sdwa v31, v31, v24 dst_sel:DWORD dst_unused:UNUSED_PAD src0_sel:DWORD src1_sel:WORD_1
	v_fma_f16 v24, v26, v24, -v31
	v_mul_f16_sdwa v26, v27, v25 dst_sel:DWORD dst_unused:UNUSED_PAD src0_sel:DWORD src1_sel:WORD_1
	v_mul_f16_sdwa v31, v32, v25 dst_sel:DWORD dst_unused:UNUSED_PAD src0_sel:DWORD src1_sel:WORD_1
	v_fma_f16 v26, v32, v25, v26
	v_fma_f16 v25, v27, v25, -v31
	v_sub_f16_e32 v31, v16, v25
	v_add_f16_e32 v27, v33, v26
	v_mul_f16_e32 v32, 0xb853, v31
	v_mul_f16_e32 v36, 0xbb47, v31
	v_mul_f16_e32 v38, 0xbbeb, v31
	v_mul_f16_e32 v40, 0xba0c, v31
	v_mul_f16_e32 v31, 0xb482, v31
	v_fma_f16 v35, v27, s0, v32
	v_fma_f16 v32, v27, s0, -v32
	v_fma_f16 v37, v27, s1, v36
	v_fma_f16 v36, v27, s1, -v36
	;; [unrolled: 2-line block ×5, first 2 shown]
	v_add_f16_e32 v31, v16, v25
	v_sub_f16_e32 v43, v33, v26
	v_mul_f16_e32 v44, 0x3abb, v31
	v_mul_f16_e32 v46, 0x36a6, v31
	;; [unrolled: 1-line block ×5, first 2 shown]
	v_fma_f16 v45, v43, s15, v44
	v_fma_f16 v44, v43, s16, v44
	;; [unrolled: 1-line block ×10, first 2 shown]
	v_add_f16_e32 v33, v33, v28
	v_add_f16_sdwa v16, v16, v28 dst_sel:DWORD dst_unused:UNUSED_PAD src0_sel:DWORD src1_sel:WORD_1
	v_add_f16_e32 v35, v35, v28
	v_add_f16_sdwa v43, v45, v28 dst_sel:DWORD dst_unused:UNUSED_PAD src0_sel:DWORD src1_sel:WORD_1
	;; [unrolled: 2-line block ×11, first 2 shown]
	v_add_f16_e32 v31, v33, v34
	v_add_f16_e32 v16, v16, v14
	v_add_f16_e32 v31, v31, v17
	v_add_f16_e32 v16, v16, v18
	v_add_f16_e32 v31, v31, v19
	v_add_f16_e32 v16, v16, v29
	v_add_f16_e32 v31, v31, v8
	v_add_f16_e32 v16, v16, v10
	v_add_f16_e32 v31, v31, v11
	v_add_f16_e32 v16, v16, v12
	v_add_f16_e32 v31, v31, v20
	v_add_f16_e32 v16, v16, v21
	v_add_f16_e32 v31, v31, v23
	v_add_f16_e32 v16, v16, v22
	v_add_f16_e32 v31, v31, v30
	v_add_f16_e32 v16, v16, v24
	v_add_f16_e32 v26, v31, v26
	v_add_f16_sdwa v16, v16, v25 dst_sel:WORD_1 dst_unused:UNUSED_PAD src0_sel:DWORD src1_sel:DWORD
	v_or_b32_e32 v16, v16, v26
	v_add_f16_e32 v25, v34, v30
	v_sub_f16_e32 v26, v34, v30
	v_add_f16_e32 v30, v14, v24
	v_sub_f16_e32 v14, v14, v24
	v_mul_f16_e32 v24, 0xbb47, v14
	v_fma_f16 v31, v25, s1, v24
	v_mul_f16_e32 v33, 0x36a6, v30
	v_fma_f16 v24, v25, s1, -v24
	v_fma_f16 v34, v26, s9, v33
	v_add_f16_e32 v24, v24, v32
	v_fma_f16 v32, v26, s14, v33
	v_mul_f16_e32 v33, 0xba0c, v14
	v_add_f16_e32 v31, v31, v35
	v_fma_f16 v35, v25, s5, v33
	v_add_f16_e32 v35, v35, v37
	v_mul_f16_e32 v37, 0xb93d, v30
	v_fma_f16 v33, v25, s5, -v33
	v_add_f16_e32 v34, v34, v43
	v_fma_f16 v43, v26, s18, v37
	v_add_f16_e32 v33, v33, v36
	v_fma_f16 v36, v26, s17, v37
	v_mul_f16_e32 v37, 0x3482, v14
	v_add_f16_e32 v32, v32, v44
	v_fma_f16 v44, v25, s6, v37
	v_add_f16_e32 v39, v44, v39
	v_mul_f16_e32 v44, 0xbbad, v30
	v_fma_f16 v37, v25, s6, -v37
	v_add_f16_e32 v43, v43, v45
	v_fma_f16 v45, v26, s19, v44
	v_add_f16_e32 v37, v37, v38
	v_fma_f16 v38, v26, s20, v44
	v_mul_f16_e32 v44, 0x3beb, v14
	v_add_f16_e32 v36, v36, v46
	v_fma_f16 v46, v25, s4, v44
	v_add_f16_e32 v41, v46, v41
	v_mul_f16_e32 v46, 0xb08e, v30
	v_fma_f16 v44, v25, s4, -v44
	v_mul_f16_e32 v14, 0x3853, v14
	v_add_f16_e32 v45, v45, v47
	v_fma_f16 v47, v26, s7, v46
	v_add_f16_e32 v40, v44, v40
	v_fma_f16 v44, v26, s8, v46
	v_fma_f16 v46, v25, s0, v14
	v_mul_f16_e32 v30, 0x3abb, v30
	v_add_f16_e32 v42, v46, v42
	v_fma_f16 v46, v26, s16, v30
	v_fma_f16 v14, v25, s0, -v14
	v_fma_f16 v25, v26, s15, v30
	v_add_f16_e32 v26, v17, v23
	v_sub_f16_e32 v17, v17, v23
	v_add_f16_e32 v23, v18, v22
	v_sub_f16_e32 v18, v18, v22
	v_mul_f16_e32 v22, 0xbbeb, v18
	v_add_f16_e32 v14, v14, v27
	v_add_f16_e32 v25, v25, v28
	v_fma_f16 v27, v26, s4, v22
	v_mul_f16_e32 v28, 0xb08e, v23
	v_fma_f16 v22, v26, s4, -v22
	v_fma_f16 v30, v17, s8, v28
	v_add_f16_e32 v22, v22, v24
	v_fma_f16 v24, v17, s7, v28
	v_mul_f16_e32 v28, 0x3482, v18
	v_add_f16_e32 v27, v27, v31
	v_add_f16_e32 v24, v24, v32
	v_fma_f16 v31, v26, s6, v28
	v_mul_f16_e32 v32, 0xbbad, v23
	v_fma_f16 v28, v26, s6, -v28
	v_add_f16_e32 v30, v30, v34
	v_fma_f16 v34, v17, s19, v32
	v_add_f16_e32 v28, v28, v33
	v_fma_f16 v32, v17, s20, v32
	v_mul_f16_e32 v33, 0x3b47, v18
	v_add_f16_e32 v31, v31, v35
	v_add_f16_e32 v32, v32, v36
	v_fma_f16 v35, v26, s1, v33
	v_mul_f16_e32 v36, 0x36a6, v23
	v_fma_f16 v33, v26, s1, -v33
	v_add_f16_e32 v38, v38, v48
	v_add_f16_e32 v35, v35, v39
	v_fma_f16 v39, v17, s14, v36
	v_add_f16_e32 v33, v33, v37
	v_fma_f16 v36, v17, s9, v36
	v_mul_f16_e32 v37, 0xb853, v18
	v_add_f16_e32 v36, v36, v38
	v_fma_f16 v38, v26, s0, v37
	v_add_f16_e32 v38, v38, v41
	v_mul_f16_e32 v41, 0x3abb, v23
	v_fma_f16 v37, v26, s0, -v37
	v_mul_f16_e32 v18, 0xba0c, v18
	v_add_f16_e32 v34, v34, v43
	v_fma_f16 v43, v17, s15, v41
	v_add_f16_e32 v37, v37, v40
	v_fma_f16 v40, v17, s16, v41
	v_fma_f16 v41, v26, s5, v18
	v_fma_f16 v18, v26, s5, -v18
	v_mul_f16_e32 v23, 0xb93d, v23
	v_add_f16_e32 v14, v18, v14
	v_add_f16_e32 v18, v19, v20
	v_sub_f16_e32 v19, v19, v20
	v_add_f16_e32 v20, v29, v21
	v_sub_f16_e32 v21, v29, v21
	v_add_f16_e32 v41, v41, v42
	v_fma_f16 v42, v17, s18, v23
	v_fma_f16 v17, v17, s17, v23
	v_mul_f16_e32 v23, 0xba0c, v21
	v_add_f16_e32 v17, v17, v25
	v_fma_f16 v25, v18, s5, v23
	v_mul_f16_e32 v26, 0xb93d, v20
	v_fma_f16 v23, v18, s5, -v23
	v_add_f16_e32 v22, v23, v22
	v_fma_f16 v23, v19, s17, v26
	v_add_f16_e32 v23, v23, v24
	v_mul_f16_e32 v24, 0x3beb, v21
	v_add_f16_e32 v25, v25, v27
	v_fma_f16 v27, v19, s18, v26
	v_fma_f16 v26, v18, s4, v24
	v_mul_f16_e32 v29, 0xb08e, v20
	v_fma_f16 v24, v18, s4, -v24
	v_add_f16_e32 v27, v27, v30
	v_fma_f16 v30, v19, s7, v29
	v_add_f16_e32 v24, v24, v28
	v_fma_f16 v28, v19, s8, v29
	v_mul_f16_e32 v29, 0xb853, v21
	v_add_f16_e32 v26, v26, v31
	v_fma_f16 v31, v18, s0, v29
	v_fma_f16 v29, v18, s0, -v29
	v_add_f16_e32 v28, v28, v32
	v_mul_f16_e32 v32, 0x3abb, v20
	v_add_f16_e32 v29, v29, v33
	v_mul_f16_e32 v33, 0xb482, v21
	v_add_f16_e32 v30, v30, v34
	v_add_f16_e32 v31, v31, v35
	v_fma_f16 v34, v19, s15, v32
	v_fma_f16 v32, v19, s16, v32
	;; [unrolled: 1-line block ×3, first 2 shown]
	v_fma_f16 v33, v18, s6, -v33
	v_mul_f16_e32 v21, 0x3b47, v21
	v_add_f16_e32 v39, v39, v45
	v_add_f16_e32 v32, v32, v36
	v_mul_f16_e32 v36, 0xbbad, v20
	v_add_f16_e32 v33, v33, v37
	v_fma_f16 v37, v18, s1, v21
	v_mul_f16_e32 v20, 0x36a6, v20
	v_fma_f16 v18, v18, s1, -v21
	v_add_f16_e32 v34, v34, v39
	v_add_f16_e32 v35, v35, v38
	v_fma_f16 v38, v19, s20, v36
	v_fma_f16 v36, v19, s19, v36
	v_fma_f16 v39, v19, s14, v20
	v_add_f16_e32 v14, v18, v14
	v_fma_f16 v18, v19, s9, v20
	v_add_f16_e32 v19, v10, v12
	v_sub_f16_e32 v10, v10, v12
	v_add_f16_e32 v17, v18, v17
	v_add_f16_e32 v18, v8, v11
	v_sub_f16_e32 v8, v8, v11
	v_mul_f16_e32 v11, 0xb482, v10
	v_fma_f16 v12, v18, s6, v11
	v_mul_f16_e32 v20, 0xbbad, v19
	v_fma_f16 v11, v18, s6, -v11
	v_fma_f16 v21, v8, s20, v20
	v_add_f16_e32 v11, v11, v22
	v_fma_f16 v20, v8, s19, v20
	v_mul_f16_e32 v22, 0x3853, v10
	v_add_f16_e32 v12, v12, v25
	v_add_f16_e32 v20, v20, v23
	v_fma_f16 v23, v18, s0, v22
	v_mul_f16_e32 v25, 0x3abb, v19
	v_fma_f16 v22, v18, s0, -v22
	v_add_f16_e32 v23, v23, v26
	v_fma_f16 v26, v8, s16, v25
	v_add_f16_e32 v22, v22, v24
	v_fma_f16 v24, v8, s15, v25
	v_mul_f16_e32 v25, 0xba0c, v10
	v_add_f16_e32 v21, v21, v27
	v_add_f16_e32 v24, v24, v28
	v_fma_f16 v27, v18, s5, v25
	v_mul_f16_e32 v28, 0xb93d, v19
	v_fma_f16 v25, v18, s5, -v25
	v_add_f16_e32 v44, v44, v50
	v_add_f16_e32 v26, v26, v30
	v_fma_f16 v30, v8, s18, v28
	v_add_f16_e32 v25, v25, v29
	v_fma_f16 v28, v8, s17, v28
	v_mul_f16_e32 v29, 0x3b47, v10
	v_add_f16_e32 v40, v40, v44
	v_add_f16_e32 v27, v27, v31
	;; [unrolled: 1-line block ×3, first 2 shown]
	v_fma_f16 v31, v18, s1, v29
	v_mul_f16_e32 v32, 0x36a6, v19
	v_fma_f16 v29, v18, s1, -v29
	v_mul_f16_e32 v10, 0xbbeb, v10
	v_mul_f16_e32 v19, 0xb08e, v19
	v_add_f16_e32 v47, v47, v49
	v_add_f16_e32 v46, v46, v51
	;; [unrolled: 1-line block ×5, first 2 shown]
	v_fma_f16 v34, v8, s14, v32
	v_add_f16_e32 v29, v29, v33
	v_fma_f16 v32, v8, s9, v32
	v_fma_f16 v33, v18, s4, v10
	;; [unrolled: 1-line block ×3, first 2 shown]
	v_fma_f16 v10, v18, s4, -v10
	v_fma_f16 v8, v8, s7, v19
	v_add_f16_e32 v43, v43, v47
	v_add_f16_e32 v42, v42, v46
	;; [unrolled: 1-line block ×8, first 2 shown]
	v_pack_b32_f16 v12, v12, v21
	v_pack_b32_f16 v8, v10, v8
	;; [unrolled: 1-line block ×3, first 2 shown]
	v_add_f16_e32 v34, v34, v38
	v_add_f16_e32 v33, v33, v37
	;; [unrolled: 1-line block ×3, first 2 shown]
	s_waitcnt lgkmcnt(0)
	; wave barrier
	ds_write2_b32 v0, v16, v12 offset1:44
	v_pack_b32_f16 v12, v23, v26
	v_pack_b32_f16 v14, v27, v30
	ds_write2_b32 v6, v8, v10 offset0:8 offset1:52
	v_pack_b32_f16 v8, v25, v28
	v_pack_b32_f16 v10, v22, v24
	ds_write2_b32 v0, v12, v14 offset0:88 offset1:132
	;; [unrolled: 3-line block ×3, first 2 shown]
	v_pack_b32_f16 v6, v11, v20
	ds_write2_b32 v0, v12, v14 offset0:176 offset1:220
	ds_write_b32 v0, v6 offset:1760
	s_waitcnt lgkmcnt(0)
	; wave barrier
	s_waitcnt lgkmcnt(0)
	ds_read_b32 v8, v0
	v_lshlrev_b32_e32 v6, 2, v5
	v_sub_u32_e32 v14, 0, v6
	v_cmp_ne_u32_e64 s[0:1], 0, v5
                                        ; implicit-def: $vgpr18
                                        ; implicit-def: $vgpr17
                                        ; implicit-def: $vgpr16
                                        ; implicit-def: $vgpr11_vgpr12
	s_and_saveexec_b64 s[4:5], s[0:1]
	s_xor_b64 s[4:5], exec, s[4:5]
	s_cbranch_execz .LBB0_17
; %bb.16:
	v_mov_b32_e32 v6, 0
	v_lshlrev_b64 v[10:11], 2, v[5:6]
	v_mov_b32_e32 v12, s13
	v_add_co_u32_e64 v10, s[0:1], s12, v10
	v_addc_co_u32_e64 v11, s[0:1], v12, v11, s[0:1]
	global_load_dword v10, v[10:11], off offset:1920
	ds_read_b32 v11, v14 offset:1936
	s_waitcnt lgkmcnt(0)
	v_add_f16_sdwa v16, v11, v8 dst_sel:DWORD dst_unused:UNUSED_PAD src0_sel:WORD_1 src1_sel:WORD_1
	v_sub_f16_e32 v17, v8, v11
	v_add_f16_e32 v12, v11, v8
	v_sub_f16_sdwa v8, v8, v11 dst_sel:DWORD dst_unused:UNUSED_PAD src0_sel:WORD_1 src1_sel:WORD_1
	v_mul_f16_e32 v11, 0.5, v16
	v_mul_f16_e32 v17, 0.5, v17
	;; [unrolled: 1-line block ×3, first 2 shown]
	s_waitcnt vmcnt(0)
	v_lshrrev_b32_e32 v16, 16, v10
	v_mul_f16_e32 v18, v16, v17
	v_fma_f16 v19, v11, v16, v8
	v_fma_f16 v8, v11, v16, -v8
	v_fma_f16 v20, v12, 0.5, v18
	v_fma_f16 v12, v12, 0.5, -v18
	v_fma_f16 v16, -v10, v17, v19
	v_fma_f16 v18, -v10, v17, v8
	v_fma_f16 v8, v10, v11, v20
	v_fma_f16 v17, -v10, v11, v12
	v_mov_b32_e32 v12, v6
	ds_write_b16 v0, v8
	v_mov_b32_e32 v11, v5
                                        ; implicit-def: $vgpr8
.LBB0_17:
	s_or_saveexec_b64 s[0:1], s[4:5]
	v_mul_i32_i24_e32 v19, -12, v7
	s_xor_b64 exec, exec, s[0:1]
	s_cbranch_execz .LBB0_19
; %bb.18:
	v_mov_b32_e32 v16, 0
	ds_read_u16 v6, v16 offset:970
	v_mov_b32_e32 v11, 0
	s_waitcnt lgkmcnt(1)
	v_add_f16_sdwa v10, v8, v8 dst_sel:DWORD dst_unused:UNUSED_PAD src0_sel:WORD_1 src1_sel:DWORD
	v_sub_f16_sdwa v17, v8, v8 dst_sel:DWORD dst_unused:UNUSED_PAD src0_sel:DWORD src1_sel:WORD_1
	v_mov_b32_e32 v12, 0
	s_waitcnt lgkmcnt(0)
	v_xor_b32_e32 v6, 0x8000, v6
	v_mov_b32_e32 v18, 0
	ds_write_b16 v0, v10
	ds_write_b16 v16, v6 offset:970
.LBB0_19:
	s_or_b64 exec, exec, s[0:1]
	s_waitcnt lgkmcnt(0)
	v_mov_b32_e32 v8, 0
	v_lshlrev_b64 v[6:7], 2, v[7:8]
	v_mov_b32_e32 v10, s13
	v_add_co_u32_e64 v6, s[0:1], s12, v6
	v_addc_co_u32_e64 v7, s[0:1], v10, v7, s[0:1]
	global_load_dword v20, v[6:7], off offset:1920
	v_mov_b32_e32 v10, v8
	v_lshlrev_b64 v[6:7], 2, v[9:10]
	v_mov_b32_e32 v21, s13
	v_add_co_u32_e64 v6, s[0:1], s12, v6
	v_addc_co_u32_e64 v7, s[0:1], v21, v7, s[0:1]
	global_load_dword v8, v[6:7], off offset:1920
	s_add_u32 s0, s12, 0x780
	v_lshlrev_b64 v[6:7], 2, v[11:12]
	s_addc_u32 s1, s13, 0
	v_mov_b32_e32 v9, s1
	v_add_co_u32_e64 v6, s[0:1], s0, v6
	v_addc_co_u32_e64 v7, s[0:1], v9, v7, s[0:1]
	global_load_dword v9, v[6:7], off offset:528
	v_add_u32_e32 v10, v15, v19
	global_load_dword v15, v[6:7], off offset:704
	s_mov_b32 s0, 0x5040100
	v_perm_b32 v11, v18, v17, s0
	ds_write_b16 v0, v16 offset:2
	ds_write_b32 v14, v11 offset:1936
	ds_read_b32 v12, v14 offset:1760
	ds_read_b32 v11, v10
	s_mov_b32 s6, 0xffff
	v_cmp_gt_u32_e64 s[0:1], 22, v5
	s_waitcnt lgkmcnt(0)
	v_pk_add_f16 v16, v11, v12 neg_lo:[0,1] neg_hi:[0,1]
	v_pk_add_f16 v11, v11, v12
	v_bfi_b32 v12, s6, v16, v11
	v_bfi_b32 v11, s6, v11, v16
	v_pk_mul_f16 v12, v12, 0.5 op_sel_hi:[1,0]
	v_pk_mul_f16 v11, v11, 0.5 op_sel_hi:[1,0]
	s_waitcnt vmcnt(3)
	v_pk_fma_f16 v16, v20, v12, v11 op_sel:[1,0,0]
	v_pk_mul_f16 v17, v20, v12 op_sel_hi:[0,1]
	v_pk_fma_f16 v18, v20, v12, v11 op_sel:[1,0,0] neg_lo:[1,0,0] neg_hi:[1,0,0]
	v_pk_fma_f16 v11, v20, v12, v11 op_sel:[1,0,0] neg_lo:[0,0,1] neg_hi:[0,0,1]
	v_pk_add_f16 v12, v16, v17 op_sel:[0,1] op_sel_hi:[1,0]
	v_pk_add_f16 v16, v16, v17 op_sel:[0,1] op_sel_hi:[1,0] neg_lo:[0,1] neg_hi:[0,1]
	v_pk_add_f16 v18, v18, v17 op_sel:[0,1] op_sel_hi:[1,0] neg_lo:[0,1] neg_hi:[0,1]
	;; [unrolled: 1-line block ×3, first 2 shown]
	v_bfi_b32 v12, s6, v12, v16
	v_bfi_b32 v11, s6, v18, v11
	ds_write_b32 v10, v12
	ds_write_b32 v14, v11 offset:1760
	ds_read_b32 v10, v13
	ds_read_b32 v11, v14 offset:1584
	s_waitcnt lgkmcnt(0)
	v_pk_add_f16 v12, v10, v11 neg_lo:[0,1] neg_hi:[0,1]
	v_pk_add_f16 v10, v10, v11
	v_bfi_b32 v11, s6, v12, v10
	v_bfi_b32 v10, s6, v10, v12
	v_pk_mul_f16 v11, v11, 0.5 op_sel_hi:[1,0]
	v_pk_mul_f16 v10, v10, 0.5 op_sel_hi:[1,0]
	s_waitcnt vmcnt(2)
	v_pk_fma_f16 v12, v8, v11, v10 op_sel:[1,0,0]
	v_pk_mul_f16 v16, v8, v11 op_sel_hi:[0,1]
	v_pk_fma_f16 v17, v8, v11, v10 op_sel:[1,0,0] neg_lo:[1,0,0] neg_hi:[1,0,0]
	v_pk_fma_f16 v8, v8, v11, v10 op_sel:[1,0,0] neg_lo:[0,0,1] neg_hi:[0,0,1]
	v_pk_add_f16 v10, v12, v16 op_sel:[0,1] op_sel_hi:[1,0]
	v_pk_add_f16 v11, v12, v16 op_sel:[0,1] op_sel_hi:[1,0] neg_lo:[0,1] neg_hi:[0,1]
	v_pk_add_f16 v12, v17, v16 op_sel:[0,1] op_sel_hi:[1,0] neg_lo:[0,1] neg_hi:[0,1]
	;; [unrolled: 1-line block ×3, first 2 shown]
	v_bfi_b32 v10, s6, v10, v11
	v_bfi_b32 v8, s6, v12, v8
	ds_write_b32 v13, v10
	ds_write_b32 v14, v8 offset:1584
	ds_read_b32 v8, v0 offset:528
	ds_read_b32 v10, v14 offset:1408
	s_waitcnt lgkmcnt(0)
	v_pk_add_f16 v11, v8, v10 neg_lo:[0,1] neg_hi:[0,1]
	v_pk_add_f16 v8, v8, v10
	v_bfi_b32 v10, s6, v11, v8
	v_bfi_b32 v8, s6, v8, v11
	v_pk_mul_f16 v10, v10, 0.5 op_sel_hi:[1,0]
	v_pk_mul_f16 v8, v8, 0.5 op_sel_hi:[1,0]
	s_waitcnt vmcnt(1)
	v_pk_fma_f16 v11, v9, v10, v8 op_sel:[1,0,0]
	v_pk_mul_f16 v12, v9, v10 op_sel_hi:[0,1]
	v_pk_fma_f16 v13, v9, v10, v8 op_sel:[1,0,0] neg_lo:[1,0,0] neg_hi:[1,0,0]
	v_pk_fma_f16 v8, v9, v10, v8 op_sel:[1,0,0] neg_lo:[0,0,1] neg_hi:[0,0,1]
	v_pk_add_f16 v9, v11, v12 op_sel:[0,1] op_sel_hi:[1,0]
	v_pk_add_f16 v10, v11, v12 op_sel:[0,1] op_sel_hi:[1,0] neg_lo:[0,1] neg_hi:[0,1]
	v_pk_add_f16 v11, v13, v12 op_sel:[0,1] op_sel_hi:[1,0] neg_lo:[0,1] neg_hi:[0,1]
	;; [unrolled: 1-line block ×3, first 2 shown]
	v_bfi_b32 v9, s6, v9, v10
	v_bfi_b32 v8, s6, v11, v8
	ds_write_b32 v0, v9 offset:528
	ds_write_b32 v14, v8 offset:1408
	ds_read_b32 v8, v0 offset:704
	ds_read_b32 v9, v14 offset:1232
	s_waitcnt lgkmcnt(0)
	v_pk_add_f16 v10, v8, v9 neg_lo:[0,1] neg_hi:[0,1]
	v_pk_add_f16 v8, v8, v9
	v_bfi_b32 v9, s6, v10, v8
	v_bfi_b32 v8, s6, v8, v10
	v_pk_mul_f16 v9, v9, 0.5 op_sel_hi:[1,0]
	v_pk_mul_f16 v8, v8, 0.5 op_sel_hi:[1,0]
	s_waitcnt vmcnt(0)
	v_pk_fma_f16 v10, v15, v9, v8 op_sel:[1,0,0]
	v_pk_mul_f16 v11, v15, v9 op_sel_hi:[0,1]
	v_pk_fma_f16 v12, v15, v9, v8 op_sel:[1,0,0] neg_lo:[1,0,0] neg_hi:[1,0,0]
	v_pk_fma_f16 v8, v15, v9, v8 op_sel:[1,0,0] neg_lo:[0,0,1] neg_hi:[0,0,1]
	v_pk_add_f16 v9, v10, v11 op_sel:[0,1] op_sel_hi:[1,0]
	v_pk_add_f16 v10, v10, v11 op_sel:[0,1] op_sel_hi:[1,0] neg_lo:[0,1] neg_hi:[0,1]
	v_pk_add_f16 v12, v12, v11 op_sel:[0,1] op_sel_hi:[1,0] neg_lo:[0,1] neg_hi:[0,1]
	;; [unrolled: 1-line block ×3, first 2 shown]
	v_bfi_b32 v9, s6, v9, v10
	v_bfi_b32 v8, s6, v12, v8
	ds_write_b32 v0, v9 offset:704
	ds_write_b32 v14, v8 offset:1232
	s_and_saveexec_b64 s[4:5], s[0:1]
	s_cbranch_execz .LBB0_21
; %bb.20:
	global_load_dword v6, v[6:7], off offset:880
	ds_read_b32 v7, v0 offset:880
	ds_read_b32 v8, v14 offset:1056
	s_waitcnt lgkmcnt(0)
	v_pk_add_f16 v9, v7, v8 neg_lo:[0,1] neg_hi:[0,1]
	v_pk_add_f16 v7, v7, v8
	v_bfi_b32 v8, s6, v9, v7
	v_bfi_b32 v7, s6, v7, v9
	v_pk_mul_f16 v8, v8, 0.5 op_sel_hi:[1,0]
	v_pk_mul_f16 v7, v7, 0.5 op_sel_hi:[1,0]
	s_waitcnt vmcnt(0)
	v_pk_fma_f16 v9, v6, v8, v7 op_sel:[1,0,0]
	v_pk_mul_f16 v10, v6, v8 op_sel_hi:[0,1]
	v_pk_fma_f16 v11, v6, v8, v7 op_sel:[1,0,0] neg_lo:[1,0,0] neg_hi:[1,0,0]
	v_pk_fma_f16 v6, v6, v8, v7 op_sel:[1,0,0] neg_lo:[0,0,1] neg_hi:[0,0,1]
	v_pk_add_f16 v7, v9, v10 op_sel:[0,1] op_sel_hi:[1,0]
	v_pk_add_f16 v8, v9, v10 op_sel:[0,1] op_sel_hi:[1,0] neg_lo:[0,1] neg_hi:[0,1]
	v_pk_add_f16 v9, v11, v10 op_sel:[0,1] op_sel_hi:[1,0] neg_lo:[0,1] neg_hi:[0,1]
	;; [unrolled: 1-line block ×3, first 2 shown]
	v_bfi_b32 v7, s6, v7, v8
	v_bfi_b32 v6, s6, v9, v6
	ds_write_b32 v0, v7 offset:880
	ds_write_b32 v14, v6 offset:1056
.LBB0_21:
	s_or_b64 exec, exec, s[4:5]
	s_waitcnt lgkmcnt(0)
	; wave barrier
	s_waitcnt lgkmcnt(0)
	s_and_saveexec_b64 s[0:1], vcc
	s_cbranch_execz .LBB0_24
; %bb.22:
	v_mul_lo_u32 v0, s3, v3
	v_mul_lo_u32 v6, s2, v4
	v_mad_u64_u32 v[3:4], s[0:1], s2, v3, 0
	v_lshl_add_u32 v9, v5, 2, 0
	ds_read2_b32 v[7:8], v9 offset1:44
	v_add3_u32 v4, v4, v6, v0
	v_lshlrev_b64 v[3:4], 2, v[3:4]
	v_mov_b32_e32 v0, s11
	v_add_co_u32_e32 v3, vcc, s10, v3
	v_addc_co_u32_e32 v4, vcc, v0, v4, vcc
	v_lshlrev_b64 v[0:1], 2, v[1:2]
	v_mov_b32_e32 v6, 0
	v_add_co_u32_e32 v0, vcc, v3, v0
	v_lshlrev_b64 v[2:3], 2, v[5:6]
	v_addc_co_u32_e32 v1, vcc, v4, v1, vcc
	v_add_co_u32_e32 v2, vcc, v0, v2
	v_addc_co_u32_e32 v3, vcc, v1, v3, vcc
	s_waitcnt lgkmcnt(0)
	global_store_dword v[2:3], v7, off
	v_add_u32_e32 v2, 44, v5
	v_mov_b32_e32 v3, v6
	v_lshlrev_b64 v[2:3], 2, v[2:3]
	v_add_u32_e32 v4, 0x400, v9
	v_add_co_u32_e32 v2, vcc, v0, v2
	v_addc_co_u32_e32 v3, vcc, v1, v3, vcc
	global_store_dword v[2:3], v8, off
	v_add_u32_e32 v2, 0x58, v5
	v_mov_b32_e32 v3, v6
	ds_read2_b32 v[7:8], v9 offset0:88 offset1:132
	v_lshlrev_b64 v[2:3], 2, v[2:3]
	v_add_co_u32_e32 v2, vcc, v0, v2
	v_addc_co_u32_e32 v3, vcc, v1, v3, vcc
	s_waitcnt lgkmcnt(0)
	global_store_dword v[2:3], v7, off
	v_add_u32_e32 v2, 0x84, v5
	v_mov_b32_e32 v3, v6
	v_lshlrev_b64 v[2:3], 2, v[2:3]
	v_add_co_u32_e32 v2, vcc, v0, v2
	v_addc_co_u32_e32 v3, vcc, v1, v3, vcc
	global_store_dword v[2:3], v8, off
	v_add_u32_e32 v2, 0xb0, v5
	v_mov_b32_e32 v3, v6
	ds_read2_b32 v[7:8], v9 offset0:176 offset1:220
	v_lshlrev_b64 v[2:3], 2, v[2:3]
	v_add_co_u32_e32 v2, vcc, v0, v2
	v_addc_co_u32_e32 v3, vcc, v1, v3, vcc
	s_waitcnt lgkmcnt(0)
	global_store_dword v[2:3], v7, off
	v_add_u32_e32 v2, 0xdc, v5
	v_mov_b32_e32 v3, v6
	v_lshlrev_b64 v[2:3], 2, v[2:3]
	;; [unrolled: 14-line block ×3, first 2 shown]
	v_add_co_u32_e32 v2, vcc, v0, v2
	v_addc_co_u32_e32 v3, vcc, v1, v3, vcc
	global_store_dword v[2:3], v8, off
	v_add_u32_e32 v2, 0x160, v5
	v_mov_b32_e32 v3, v6
	ds_read2_b32 v[7:8], v4 offset0:96 offset1:140
	v_lshlrev_b64 v[2:3], 2, v[2:3]
	ds_read_b32 v4, v9 offset:1760
	v_add_co_u32_e32 v2, vcc, v0, v2
	v_addc_co_u32_e32 v3, vcc, v1, v3, vcc
	s_waitcnt lgkmcnt(1)
	global_store_dword v[2:3], v7, off
	v_add_u32_e32 v2, 0x18c, v5
	v_mov_b32_e32 v3, v6
	v_lshlrev_b64 v[2:3], 2, v[2:3]
	v_add_co_u32_e32 v2, vcc, v0, v2
	v_addc_co_u32_e32 v3, vcc, v1, v3, vcc
	global_store_dword v[2:3], v8, off
	v_add_u32_e32 v2, 0x1b8, v5
	v_mov_b32_e32 v3, v6
	v_lshlrev_b64 v[2:3], 2, v[2:3]
	v_add_co_u32_e32 v2, vcc, v0, v2
	v_addc_co_u32_e32 v3, vcc, v1, v3, vcc
	v_cmp_eq_u32_e32 vcc, 43, v5
	s_waitcnt lgkmcnt(0)
	global_store_dword v[2:3], v4, off
	s_and_b64 exec, exec, vcc
	s_cbranch_execz .LBB0_24
; %bb.23:
	ds_read_b32 v2, v6 offset:1936
	s_waitcnt lgkmcnt(0)
	global_store_dword v[0:1], v2, off offset:1936
.LBB0_24:
	s_endpgm
	.section	.rodata,"a",@progbits
	.p2align	6, 0x0
	.amdhsa_kernel fft_rtc_back_len484_factors_4_11_11_wgs_44_tpt_44_half_op_CI_CI_unitstride_sbrr_R2C_dirReg
		.amdhsa_group_segment_fixed_size 0
		.amdhsa_private_segment_fixed_size 0
		.amdhsa_kernarg_size 104
		.amdhsa_user_sgpr_count 6
		.amdhsa_user_sgpr_private_segment_buffer 1
		.amdhsa_user_sgpr_dispatch_ptr 0
		.amdhsa_user_sgpr_queue_ptr 0
		.amdhsa_user_sgpr_kernarg_segment_ptr 1
		.amdhsa_user_sgpr_dispatch_id 0
		.amdhsa_user_sgpr_flat_scratch_init 0
		.amdhsa_user_sgpr_private_segment_size 0
		.amdhsa_uses_dynamic_stack 0
		.amdhsa_system_sgpr_private_segment_wavefront_offset 0
		.amdhsa_system_sgpr_workgroup_id_x 1
		.amdhsa_system_sgpr_workgroup_id_y 0
		.amdhsa_system_sgpr_workgroup_id_z 0
		.amdhsa_system_sgpr_workgroup_info 0
		.amdhsa_system_vgpr_workitem_id 0
		.amdhsa_next_free_vgpr 61
		.amdhsa_next_free_sgpr 28
		.amdhsa_reserve_vcc 1
		.amdhsa_reserve_flat_scratch 0
		.amdhsa_float_round_mode_32 0
		.amdhsa_float_round_mode_16_64 0
		.amdhsa_float_denorm_mode_32 3
		.amdhsa_float_denorm_mode_16_64 3
		.amdhsa_dx10_clamp 1
		.amdhsa_ieee_mode 1
		.amdhsa_fp16_overflow 0
		.amdhsa_exception_fp_ieee_invalid_op 0
		.amdhsa_exception_fp_denorm_src 0
		.amdhsa_exception_fp_ieee_div_zero 0
		.amdhsa_exception_fp_ieee_overflow 0
		.amdhsa_exception_fp_ieee_underflow 0
		.amdhsa_exception_fp_ieee_inexact 0
		.amdhsa_exception_int_div_zero 0
	.end_amdhsa_kernel
	.text
.Lfunc_end0:
	.size	fft_rtc_back_len484_factors_4_11_11_wgs_44_tpt_44_half_op_CI_CI_unitstride_sbrr_R2C_dirReg, .Lfunc_end0-fft_rtc_back_len484_factors_4_11_11_wgs_44_tpt_44_half_op_CI_CI_unitstride_sbrr_R2C_dirReg
                                        ; -- End function
	.section	.AMDGPU.csdata,"",@progbits
; Kernel info:
; codeLenInByte = 9004
; NumSgprs: 32
; NumVgprs: 61
; ScratchSize: 0
; MemoryBound: 0
; FloatMode: 240
; IeeeMode: 1
; LDSByteSize: 0 bytes/workgroup (compile time only)
; SGPRBlocks: 3
; VGPRBlocks: 15
; NumSGPRsForWavesPerEU: 32
; NumVGPRsForWavesPerEU: 61
; Occupancy: 4
; WaveLimiterHint : 1
; COMPUTE_PGM_RSRC2:SCRATCH_EN: 0
; COMPUTE_PGM_RSRC2:USER_SGPR: 6
; COMPUTE_PGM_RSRC2:TRAP_HANDLER: 0
; COMPUTE_PGM_RSRC2:TGID_X_EN: 1
; COMPUTE_PGM_RSRC2:TGID_Y_EN: 0
; COMPUTE_PGM_RSRC2:TGID_Z_EN: 0
; COMPUTE_PGM_RSRC2:TIDIG_COMP_CNT: 0
	.type	__hip_cuid_d44439de19f3f1ba,@object ; @__hip_cuid_d44439de19f3f1ba
	.section	.bss,"aw",@nobits
	.globl	__hip_cuid_d44439de19f3f1ba
__hip_cuid_d44439de19f3f1ba:
	.byte	0                               ; 0x0
	.size	__hip_cuid_d44439de19f3f1ba, 1

	.ident	"AMD clang version 19.0.0git (https://github.com/RadeonOpenCompute/llvm-project roc-6.4.0 25133 c7fe45cf4b819c5991fe208aaa96edf142730f1d)"
	.section	".note.GNU-stack","",@progbits
	.addrsig
	.addrsig_sym __hip_cuid_d44439de19f3f1ba
	.amdgpu_metadata
---
amdhsa.kernels:
  - .args:
      - .actual_access:  read_only
        .address_space:  global
        .offset:         0
        .size:           8
        .value_kind:     global_buffer
      - .offset:         8
        .size:           8
        .value_kind:     by_value
      - .actual_access:  read_only
        .address_space:  global
        .offset:         16
        .size:           8
        .value_kind:     global_buffer
      - .actual_access:  read_only
        .address_space:  global
        .offset:         24
        .size:           8
        .value_kind:     global_buffer
      - .actual_access:  read_only
        .address_space:  global
        .offset:         32
        .size:           8
        .value_kind:     global_buffer
      - .offset:         40
        .size:           8
        .value_kind:     by_value
      - .actual_access:  read_only
        .address_space:  global
        .offset:         48
        .size:           8
        .value_kind:     global_buffer
      - .actual_access:  read_only
        .address_space:  global
        .offset:         56
        .size:           8
        .value_kind:     global_buffer
      - .offset:         64
        .size:           4
        .value_kind:     by_value
      - .actual_access:  read_only
        .address_space:  global
        .offset:         72
        .size:           8
        .value_kind:     global_buffer
      - .actual_access:  read_only
        .address_space:  global
        .offset:         80
        .size:           8
        .value_kind:     global_buffer
      - .actual_access:  read_only
        .address_space:  global
        .offset:         88
        .size:           8
        .value_kind:     global_buffer
      - .actual_access:  write_only
        .address_space:  global
        .offset:         96
        .size:           8
        .value_kind:     global_buffer
    .group_segment_fixed_size: 0
    .kernarg_segment_align: 8
    .kernarg_segment_size: 104
    .language:       OpenCL C
    .language_version:
      - 2
      - 0
    .max_flat_workgroup_size: 44
    .name:           fft_rtc_back_len484_factors_4_11_11_wgs_44_tpt_44_half_op_CI_CI_unitstride_sbrr_R2C_dirReg
    .private_segment_fixed_size: 0
    .sgpr_count:     32
    .sgpr_spill_count: 0
    .symbol:         fft_rtc_back_len484_factors_4_11_11_wgs_44_tpt_44_half_op_CI_CI_unitstride_sbrr_R2C_dirReg.kd
    .uniform_work_group_size: 1
    .uses_dynamic_stack: false
    .vgpr_count:     61
    .vgpr_spill_count: 0
    .wavefront_size: 64
amdhsa.target:   amdgcn-amd-amdhsa--gfx906
amdhsa.version:
  - 1
  - 2
...

	.end_amdgpu_metadata
